;; amdgpu-corpus repo=ROCm/rocFFT kind=compiled arch=gfx906 opt=O3
	.text
	.amdgcn_target "amdgcn-amd-amdhsa--gfx906"
	.amdhsa_code_object_version 6
	.protected	fft_rtc_fwd_len343_factors_7_7_7_wgs_196_tpt_49_dim3_dp_op_CI_CI_sbcc_twdbase5_3step_dirReg_intrinsicReadWrite ; -- Begin function fft_rtc_fwd_len343_factors_7_7_7_wgs_196_tpt_49_dim3_dp_op_CI_CI_sbcc_twdbase5_3step_dirReg_intrinsicReadWrite
	.globl	fft_rtc_fwd_len343_factors_7_7_7_wgs_196_tpt_49_dim3_dp_op_CI_CI_sbcc_twdbase5_3step_dirReg_intrinsicReadWrite
	.p2align	8
	.type	fft_rtc_fwd_len343_factors_7_7_7_wgs_196_tpt_49_dim3_dp_op_CI_CI_sbcc_twdbase5_3step_dirReg_intrinsicReadWrite,@function
fft_rtc_fwd_len343_factors_7_7_7_wgs_196_tpt_49_dim3_dp_op_CI_CI_sbcc_twdbase5_3step_dirReg_intrinsicReadWrite: ; @fft_rtc_fwd_len343_factors_7_7_7_wgs_196_tpt_49_dim3_dp_op_CI_CI_sbcc_twdbase5_3step_dirReg_intrinsicReadWrite
; %bb.0:
	s_load_dwordx4 s[0:3], s[4:5], 0x10
	s_load_dwordx2 s[24:25], s[4:5], 0x20
	s_movk_i32 s7, 0x60
	v_cmp_gt_u32_e32 vcc, s7, v0
	s_and_saveexec_b64 s[8:9], vcc
	s_cbranch_execz .LBB0_2
; %bb.1:
	s_load_dwordx2 s[10:11], s[4:5], 0x8
	v_lshlrev_b32_e32 v5, 4, v0
	s_waitcnt lgkmcnt(0)
	global_load_dwordx4 v[1:4], v5, s[10:11]
	v_add_u32_e32 v5, 0, v5
	v_add_u32_e32 v5, 0x55c0, v5
	s_waitcnt vmcnt(0)
	ds_write2_b64 v5, v[1:2], v[3:4] offset1:1
.LBB0_2:
	s_or_b64 exec, exec, s[8:9]
	s_waitcnt lgkmcnt(0)
	s_load_dwordx2 s[22:23], s[0:1], 0x8
	s_mov_b32 s7, 0
	s_mov_b64 s[28:29], 0
	s_waitcnt lgkmcnt(0)
	s_add_u32 s8, s22, -1
	s_addc_u32 s9, s23, -1
	s_lshr_b64 s[8:9], s[8:9], 2
	s_add_u32 s26, s8, 1
	s_addc_u32 s27, s9, 0
	v_mov_b32_e32 v1, s26
	v_mov_b32_e32 v2, s27
	v_cmp_lt_u64_e32 vcc, s[6:7], v[1:2]
	s_cbranch_vccnz .LBB0_4
; %bb.3:
	v_cvt_f32_u32_e32 v1, s26
	s_sub_i32 s8, 0, s26
	s_mov_b32 s29, s7
	v_rcp_iflag_f32_e32 v1, v1
	v_mul_f32_e32 v1, 0x4f7ffffe, v1
	v_cvt_u32_f32_e32 v1, v1
	v_readfirstlane_b32 s9, v1
	s_mul_i32 s8, s8, s9
	s_mul_hi_u32 s8, s9, s8
	s_add_i32 s9, s9, s8
	s_mul_hi_u32 s8, s6, s9
	s_mul_i32 s10, s8, s26
	s_sub_i32 s10, s6, s10
	s_add_i32 s9, s8, 1
	s_sub_i32 s11, s10, s26
	s_cmp_ge_u32 s10, s26
	s_cselect_b32 s8, s9, s8
	s_cselect_b32 s10, s11, s10
	s_add_i32 s9, s8, 1
	s_cmp_ge_u32 s10, s26
	s_cselect_b32 s28, s9, s8
.LBB0_4:
	s_load_dwordx2 s[30:31], s[0:1], 0x10
	s_load_dwordx4 s[12:15], s[4:5], 0x58
	s_load_dwordx2 s[20:21], s[4:5], 0x0
	s_load_dwordx4 s[16:19], s[2:3], 0x0
	s_load_dwordx4 s[8:11], s[24:25], 0x0
	s_waitcnt lgkmcnt(0)
	v_mov_b32_e32 v1, s30
	v_mov_b32_e32 v2, s31
	v_cmp_lt_u64_e32 vcc, s[28:29], v[1:2]
	s_mov_b64 s[0:1], s[28:29]
	s_cbranch_vccnz .LBB0_6
; %bb.5:
	v_cvt_f32_u32_e32 v1, s30
	s_sub_i32 s0, 0, s30
	v_rcp_iflag_f32_e32 v1, v1
	v_mul_f32_e32 v1, 0x4f7ffffe, v1
	v_cvt_u32_f32_e32 v1, v1
	v_readfirstlane_b32 s1, v1
	s_mul_i32 s0, s0, s1
	s_mul_hi_u32 s0, s1, s0
	s_add_i32 s1, s1, s0
	s_mul_hi_u32 s0, s28, s1
	s_mul_i32 s0, s0, s30
	s_sub_i32 s0, s28, s0
	s_sub_i32 s1, s0, s30
	s_cmp_ge_u32 s0, s30
	s_cselect_b32 s0, s1, s0
	s_sub_i32 s1, s0, s30
	s_cmp_ge_u32 s0, s30
	s_cselect_b32 s0, s1, s0
.LBB0_6:
	s_mul_i32 s1, s30, s27
	s_mul_hi_u32 s4, s30, s26
	s_add_i32 s1, s4, s1
	s_mul_i32 s4, s31, s26
	s_mul_i32 s36, s30, s26
	s_add_i32 s37, s1, s4
	s_load_dwordx2 s[34:35], s[2:3], 0x10
	s_load_dwordx2 s[30:31], s[24:25], 0x10
	v_mov_b32_e32 v1, s36
	v_mov_b32_e32 v2, s37
	v_cmp_lt_u64_e32 vcc, s[6:7], v[1:2]
	s_mov_b64 s[4:5], 0
	s_cbranch_vccnz .LBB0_8
; %bb.7:
	v_cvt_f32_u32_e32 v1, s36
	s_sub_i32 s1, 0, s36
	v_rcp_iflag_f32_e32 v1, v1
	v_mul_f32_e32 v1, 0x4f7ffffe, v1
	v_cvt_u32_f32_e32 v1, v1
	v_readfirstlane_b32 s4, v1
	s_mul_i32 s1, s1, s4
	s_mul_hi_u32 s1, s4, s1
	s_add_i32 s4, s4, s1
	s_mul_hi_u32 s1, s6, s4
	s_mul_i32 s5, s1, s36
	s_sub_i32 s5, s6, s5
	s_add_i32 s4, s1, 1
	s_sub_i32 s7, s5, s36
	s_cmp_ge_u32 s5, s36
	s_cselect_b32 s1, s4, s1
	s_cselect_b32 s5, s7, s5
	s_add_i32 s4, s1, 1
	s_cmp_ge_u32 s5, s36
	s_cselect_b32 s4, s4, s1
.LBB0_8:
	s_mul_i32 s1, s28, s27
	s_mul_hi_u32 s5, s28, s26
	s_add_i32 s5, s5, s1
	s_mul_i32 s1, s28, s26
	s_sub_u32 s6, s6, s1
	s_subb_u32 s7, 0, s5
	s_lshl_b64 s[6:7], s[6:7], 2
	s_mul_i32 s1, s18, s6
	s_waitcnt lgkmcnt(0)
	s_mul_i32 s9, s34, s0
	s_add_i32 s9, s9, s1
	s_load_dword s1, s[2:3], 0x18
	s_mul_i32 s5, s10, s6
	s_mul_i32 s0, s30, s0
	s_add_i32 s0, s0, s5
	v_mov_b32_e32 v1, s22
	s_waitcnt lgkmcnt(0)
	s_mul_i32 s1, s1, s4
	s_add_i32 s2, s1, s9
	s_load_dword s1, s[24:25], 0x18
	v_mov_b32_e32 v2, s23
	v_and_b32_e32 v31, 3, v0
	v_or_b32_e32 v5, s6, v31
	v_mov_b32_e32 v6, s7
	s_waitcnt lgkmcnt(0)
	s_mul_i32 s9, s1, s4
	s_add_i32 s9, s9, s0
	s_add_u32 s0, s6, 4
	s_addc_u32 s1, s7, 0
	v_cmp_le_u64_e32 vcc, s[0:1], v[1:2]
	v_lshrrev_b32_e32 v1, 2, v0
	v_mul_lo_u32 v2, s18, v31
	v_mul_lo_u32 v3, s16, v1
	v_cmp_gt_u64_e64 s[0:1], s[22:23], v[5:6]
	s_lshl_b32 s4, s2, 4
	s_or_b64 vcc, vcc, s[0:1]
	v_add_lshl_u32 v3, v2, v3, 4
	v_cndmask_b32_e32 v3, -1, v3, vcc
	s_mov_b32 s3, 0x20000
	s_mov_b32 s2, -2
	s_mov_b32 s0, s12
	s_mov_b32 s1, s13
	buffer_load_dwordx4 v[6:9], v3, s[0:3], s4 offen
	v_add_u32_e32 v3, 49, v1
	v_mul_lo_u32 v3, s16, v3
	s_mov_b32 s12, 0xe976ee23
	s_mov_b32 s13, 0xbfe11646
	s_mov_b32 s6, 0x429ad128
	v_add_lshl_u32 v3, v2, v3, 4
	v_cndmask_b32_e32 v3, -1, v3, vcc
	buffer_load_dwordx4 v[10:13], v3, s[0:3], s4 offen
	v_add_u32_e32 v3, 0x62, v1
	v_mul_lo_u32 v3, s16, v3
	s_mov_b32 s7, 0x3febfeb5
	s_mov_b32 s18, 0x5476071b
	s_mov_b32 s24, 0xb247c609
	v_add_lshl_u32 v3, v2, v3, 4
	v_cndmask_b32_e32 v3, -1, v3, vcc
	;; [unrolled: 8-line block ×4, first 2 shown]
	buffer_load_dwordx4 v[22:25], v3, s[0:3], s4 offen
	v_add_u32_e32 v3, 0xf5, v1
	v_mul_lo_u32 v3, s16, v3
	s_mov_b32 s28, 0x37c3f68c
	s_mov_b32 s29, 0x3fdc38aa
	v_mul_lo_u16_e32 v4, 37, v1
	v_add_lshl_u32 v3, v2, v3, 4
	v_cndmask_b32_e32 v3, -1, v3, vcc
	buffer_load_dwordx4 v[26:29], v3, s[0:3], s4 offen
	v_add_u32_e32 v3, 0x126, v1
	v_mul_lo_u32 v3, s16, v3
	s_mov_b32 s16, 0xaaaaaaaa
	s_mov_b32 s17, 0xbff2aaaa
	v_mov_b32_e32 v30, 7
	v_add_lshl_u32 v2, v2, v3, 4
	v_cndmask_b32_e32 v2, -1, v2, vcc
	buffer_load_dwordx4 v[32:35], v2, s[0:3], s4 offen
	s_mov_b32 s0, 0x37e14327
	s_mov_b32 s4, 0x36b3c0b5
	;; [unrolled: 1-line block ×4, first 2 shown]
	v_mul_lo_u16_sdwa v4, v4, v30 dst_sel:DWORD dst_unused:UNUSED_PAD src0_sel:BYTE_1 src1_sel:DWORD
	v_sub_u16_e32 v4, v1, v4
	v_and_b32_e32 v4, 0xff, v4
	s_movk_i32 s11, 0xfe80
	v_mul_u32_u24_e32 v30, 6, v4
	v_lshlrev_b32_e32 v30, 4, v30
	s_waitcnt vmcnt(0)
	v_add_f64 v[2:3], v[10:11], v[32:33]
	v_add_f64 v[36:37], v[12:13], v[34:35]
	v_add_f64 v[10:11], v[10:11], -v[32:33]
	v_add_f64 v[12:13], v[12:13], -v[34:35]
	v_add_f64 v[32:33], v[14:15], v[26:27]
	v_add_f64 v[34:35], v[16:17], v[28:29]
	v_add_f64 v[14:15], v[14:15], -v[26:27]
	v_add_f64 v[16:17], v[16:17], -v[28:29]
	;; [unrolled: 4-line block ×4, first 2 shown]
	v_add_f64 v[2:3], v[2:3], -v[26:27]
	v_add_f64 v[36:37], v[36:37], -v[28:29]
	;; [unrolled: 1-line block ×4, first 2 shown]
	v_add_f64 v[42:43], v[18:19], v[14:15]
	v_add_f64 v[44:45], v[20:21], v[16:17]
	v_add_f64 v[46:47], v[18:19], -v[14:15]
	v_add_f64 v[48:49], v[20:21], -v[16:17]
	v_add_f64 v[22:23], v[26:27], v[22:23]
	v_add_f64 v[24:25], v[28:29], v[24:25]
	v_add_f64 v[14:15], v[14:15], -v[10:11]
	v_add_f64 v[16:17], v[16:17], -v[12:13]
	;; [unrolled: 1-line block ×4, first 2 shown]
	v_add_f64 v[10:11], v[42:43], v[10:11]
	v_add_f64 v[12:13], v[44:45], v[12:13]
	;; [unrolled: 1-line block ×4, first 2 shown]
	v_mul_f64 v[2:3], v[2:3], s[0:1]
	v_mul_f64 v[26:27], v[36:37], s[0:1]
	;; [unrolled: 1-line block ×8, first 2 shown]
	v_fma_f64 v[22:23], v[22:23], s[16:17], v[6:7]
	v_fma_f64 v[24:25], v[24:25], s[16:17], v[8:9]
	;; [unrolled: 1-line block ×4, first 2 shown]
	v_fma_f64 v[28:29], v[38:39], s[18:19], -v[28:29]
	v_fma_f64 v[36:37], v[40:41], s[18:19], -v[36:37]
	;; [unrolled: 1-line block ×4, first 2 shown]
	v_fma_f64 v[38:39], v[18:19], s[24:25], v[42:43]
	v_fma_f64 v[40:41], v[20:21], s[24:25], v[44:45]
	v_fma_f64 v[18:19], v[18:19], s[26:27], -v[46:47]
	v_fma_f64 v[20:21], v[20:21], s[26:27], -v[48:49]
	;; [unrolled: 1-line block ×4, first 2 shown]
	v_add_f64 v[32:33], v[32:33], v[22:23]
	v_add_f64 v[34:35], v[34:35], v[24:25]
	v_fma_f64 v[38:39], v[10:11], s[28:29], v[38:39]
	v_fma_f64 v[40:41], v[12:13], s[28:29], v[40:41]
	v_add_f64 v[2:3], v[2:3], v[22:23]
	v_add_f64 v[42:43], v[26:27], v[24:25]
	v_fma_f64 v[44:45], v[10:11], s[28:29], v[18:19]
	v_fma_f64 v[26:27], v[12:13], s[28:29], v[20:21]
	;; [unrolled: 4-line block ×3, first 2 shown]
	v_add_f64 v[10:11], v[40:41], v[32:33]
	v_add_f64 v[12:13], v[34:35], -v[38:39]
	v_add_f64 v[16:17], v[42:43], -v[44:45]
	v_add_f64 v[14:15], v[26:27], v[2:3]
	v_add_f64 v[26:27], v[2:3], -v[26:27]
	v_add_f64 v[32:33], v[32:33], -v[40:41]
	v_add_f64 v[20:21], v[24:25], v[36:37]
	v_add_f64 v[18:19], v[28:29], -v[22:23]
	v_add_f64 v[22:23], v[22:23], v[28:29]
	;; [unrolled: 2-line block ×3, first 2 shown]
	v_add_f64 v[34:35], v[38:39], v[34:35]
	v_mul_u32_u24_e32 v2, 0x1c0, v1
	v_lshlrev_b32_e32 v3, 4, v31
	v_add3_u32 v2, 0, v2, v3
	ds_write_b128 v2, v[6:9]
	ds_write_b128 v2, v[10:13] offset:64
	ds_write_b128 v2, v[14:17] offset:128
	ds_write_b128 v2, v[18:21] offset:192
	ds_write_b128 v2, v[22:25] offset:256
	ds_write_b128 v2, v[26:29] offset:320
	ds_write_b128 v2, v[32:35] offset:384
	v_mad_i32_i24 v2, v1, s11, v2
	s_waitcnt lgkmcnt(0)
	s_barrier
	ds_read_b128 v[6:9], v2
	ds_read_b128 v[10:13], v2 offset:3136
	ds_read_b128 v[14:17], v2 offset:6272
	;; [unrolled: 1-line block ×6, first 2 shown]
	global_load_dwordx4 v[36:39], v30, s[20:21] offset:48
	global_load_dwordx4 v[40:43], v30, s[20:21] offset:32
	;; [unrolled: 1-line block ×3, first 2 shown]
	global_load_dwordx4 v[48:51], v30, s[20:21]
	s_waitcnt vmcnt(0) lgkmcnt(5)
	v_mul_f64 v[52:53], v[12:13], v[50:51]
	v_fma_f64 v[52:53], v[10:11], v[48:49], -v[52:53]
	v_mul_f64 v[10:11], v[10:11], v[50:51]
	v_fma_f64 v[48:49], v[12:13], v[48:49], v[10:11]
	s_waitcnt lgkmcnt(4)
	v_mul_f64 v[10:11], v[16:17], v[46:47]
	v_fma_f64 v[50:51], v[14:15], v[44:45], -v[10:11]
	v_mul_f64 v[10:11], v[14:15], v[46:47]
	v_fma_f64 v[44:45], v[16:17], v[44:45], v[10:11]
	s_waitcnt lgkmcnt(3)
	;; [unrolled: 5-line block ×3, first 2 shown]
	v_mul_f64 v[10:11], v[24:25], v[38:39]
	v_fma_f64 v[20:21], v[22:23], v[36:37], -v[10:11]
	v_mul_f64 v[10:11], v[22:23], v[38:39]
	v_fma_f64 v[22:23], v[24:25], v[36:37], v[10:11]
	global_load_dwordx4 v[10:13], v30, s[20:21] offset:80
	global_load_dwordx4 v[14:17], v30, s[20:21] offset:64
	v_mul_u32_u24_e32 v30, 0x925, v0
	s_waitcnt vmcnt(0) lgkmcnt(0)
	s_barrier
	v_mul_u32_u24_e32 v0, 0x14f, v0
	v_add_f64 v[36:37], v[18:19], v[22:23]
	v_add_f64 v[18:19], v[22:23], -v[18:19]
	v_mul_f64 v[24:25], v[28:29], v[16:17]
	v_mul_f64 v[16:17], v[26:27], v[16:17]
	v_fma_f64 v[24:25], v[26:27], v[14:15], -v[24:25]
	v_fma_f64 v[14:15], v[28:29], v[14:15], v[16:17]
	v_mul_f64 v[16:17], v[34:35], v[12:13]
	v_mul_f64 v[12:13], v[32:33], v[12:13]
	v_add_f64 v[28:29], v[50:51], v[24:25]
	v_add_f64 v[24:25], v[50:51], -v[24:25]
	v_fma_f64 v[16:17], v[32:33], v[10:11], -v[16:17]
	v_fma_f64 v[10:11], v[34:35], v[10:11], v[12:13]
	v_add_f64 v[32:33], v[44:45], v[14:15]
	v_add_f64 v[14:15], v[44:45], -v[14:15]
	v_add_f64 v[34:35], v[46:47], v[20:21]
	v_add_f64 v[20:21], v[20:21], -v[46:47]
	v_add_f64 v[12:13], v[52:53], v[16:17]
	v_add_f64 v[26:27], v[48:49], v[10:11]
	v_add_f64 v[16:17], v[52:53], -v[16:17]
	v_add_f64 v[10:11], v[48:49], -v[10:11]
	v_add_f64 v[46:47], v[18:19], v[14:15]
	v_add_f64 v[44:45], v[20:21], v[24:25]
	v_add_f64 v[48:49], v[20:21], -v[24:25]
	;; [unrolled: 4-line block ×3, first 2 shown]
	v_add_f64 v[42:43], v[32:33], -v[26:27]
	v_add_f64 v[12:13], v[12:13], -v[34:35]
	;; [unrolled: 1-line block ×5, first 2 shown]
	v_add_f64 v[22:23], v[34:35], v[22:23]
	v_add_f64 v[34:35], v[36:37], v[38:39]
	v_add_f64 v[24:25], v[24:25], -v[16:17]
	v_add_f64 v[14:15], v[14:15], -v[10:11]
	v_add_f64 v[20:21], v[16:17], -v[20:21]
	v_add_f64 v[18:19], v[10:11], -v[18:19]
	v_add_f64 v[16:17], v[44:45], v[16:17]
	v_add_f64 v[10:11], v[46:47], v[10:11]
	;; [unrolled: 1-line block ×4, first 2 shown]
	v_mul_f64 v[12:13], v[12:13], s[0:1]
	v_mul_f64 v[26:27], v[26:27], s[0:1]
	;; [unrolled: 1-line block ×8, first 2 shown]
	v_fma_f64 v[22:23], v[22:23], s[16:17], v[6:7]
	v_fma_f64 v[34:35], v[34:35], s[16:17], v[8:9]
	;; [unrolled: 1-line block ×4, first 2 shown]
	v_fma_f64 v[36:37], v[40:41], s[18:19], -v[36:37]
	v_fma_f64 v[38:39], v[42:43], s[18:19], -v[38:39]
	;; [unrolled: 1-line block ×4, first 2 shown]
	v_fma_f64 v[40:41], v[20:21], s[24:25], v[44:45]
	v_fma_f64 v[42:43], v[18:19], s[24:25], v[46:47]
	v_fma_f64 v[20:21], v[20:21], s[26:27], -v[48:49]
	v_fma_f64 v[18:19], v[18:19], s[26:27], -v[50:51]
	;; [unrolled: 1-line block ×4, first 2 shown]
	v_add_f64 v[44:45], v[28:29], v[22:23]
	v_add_f64 v[46:47], v[32:33], v[34:35]
	;; [unrolled: 1-line block ×3, first 2 shown]
	v_fma_f64 v[38:39], v[16:17], s[28:29], v[40:41]
	v_fma_f64 v[40:41], v[10:11], s[28:29], v[42:43]
	v_add_f64 v[28:29], v[36:37], v[22:23]
	v_add_f64 v[36:37], v[12:13], v[22:23]
	;; [unrolled: 1-line block ×3, first 2 shown]
	v_fma_f64 v[42:43], v[16:17], s[28:29], v[20:21]
	v_fma_f64 v[26:27], v[10:11], s[28:29], v[18:19]
	;; [unrolled: 1-line block ×4, first 2 shown]
	v_add_f64 v[10:11], v[40:41], v[44:45]
	v_add_f64 v[12:13], v[46:47], -v[38:39]
	v_add_f64 v[16:17], v[34:35], -v[42:43]
	v_add_f64 v[14:15], v[26:27], v[36:37]
	v_add_f64 v[20:21], v[24:25], v[32:33]
	v_add_f64 v[18:19], v[28:29], -v[22:23]
	v_add_f64 v[22:23], v[22:23], v[28:29]
	v_add_f64 v[24:25], v[32:33], -v[24:25]
	v_add_f64 v[26:27], v[36:37], -v[26:27]
	v_mov_b32_e32 v36, 49
	v_add_f64 v[28:29], v[42:43], v[34:35]
	v_mul_lo_u16_sdwa v30, v30, v36 dst_sel:DWORD dst_unused:UNUSED_PAD src0_sel:WORD_1 src1_sel:DWORD
	v_add_f64 v[32:33], v[44:45], -v[40:41]
	v_add_f64 v[34:35], v[38:39], v[46:47]
	v_add_lshl_u32 v4, v30, v4, 6
	v_add3_u32 v3, 0, v4, v3
	ds_write_b128 v3, v[6:9]
	ds_write_b128 v3, v[10:13] offset:448
	ds_write_b128 v3, v[14:17] offset:896
	;; [unrolled: 1-line block ×6, first 2 shown]
	s_waitcnt lgkmcnt(0)
	s_barrier
	ds_read_b128 v[6:9], v2
	ds_read_b128 v[10:13], v2 offset:3136
	ds_read_b128 v[14:17], v2 offset:6272
	;; [unrolled: 1-line block ×6, first 2 shown]
	v_mul_lo_u16_e32 v2, 21, v1
	v_lshrrev_b16_e32 v2, 10, v2
	v_mul_lo_u16_e32 v2, 49, v2
	v_sub_u16_e32 v1, v1, v2
	v_and_b32_e32 v32, 0xff, v1
	v_mul_u32_u24_e32 v1, 6, v32
	v_lshlrev_b32_e32 v30, 4, v1
	global_load_dwordx4 v[1:4], v30, s[20:21] offset:720
	global_load_dwordx4 v[37:40], v30, s[20:21] offset:704
	;; [unrolled: 1-line block ×4, first 2 shown]
	s_waitcnt vmcnt(0) lgkmcnt(5)
	v_mul_f64 v[49:50], v[12:13], v[47:48]
	v_fma_f64 v[49:50], v[10:11], v[45:46], -v[49:50]
	v_mul_f64 v[10:11], v[10:11], v[47:48]
	v_fma_f64 v[45:46], v[12:13], v[45:46], v[10:11]
	s_waitcnt lgkmcnt(4)
	v_mul_f64 v[10:11], v[16:17], v[43:44]
	v_fma_f64 v[47:48], v[14:15], v[41:42], -v[10:11]
	v_mul_f64 v[10:11], v[14:15], v[43:44]
	v_fma_f64 v[14:15], v[16:17], v[41:42], v[10:11]
	s_waitcnt lgkmcnt(3)
	;; [unrolled: 5-line block ×3, first 2 shown]
	v_mul_f64 v[10:11], v[24:25], v[3:4]
	v_mul_f64 v[3:4], v[22:23], v[3:4]
	v_fma_f64 v[20:21], v[22:23], v[1:2], -v[10:11]
	v_fma_f64 v[22:23], v[24:25], v[1:2], v[3:4]
	global_load_dwordx4 v[1:4], v30, s[20:21] offset:752
	global_load_dwordx4 v[10:13], v30, s[20:21] offset:736
	s_waitcnt vmcnt(0) lgkmcnt(1)
	v_mul_f64 v[24:25], v[28:29], v[12:13]
	v_mul_f64 v[12:13], v[26:27], v[12:13]
	v_fma_f64 v[24:25], v[26:27], v[10:11], -v[24:25]
	v_fma_f64 v[10:11], v[28:29], v[10:11], v[12:13]
	s_waitcnt lgkmcnt(0)
	v_mul_f64 v[12:13], v[35:36], v[3:4]
	v_mul_f64 v[3:4], v[33:34], v[3:4]
	v_add_f64 v[28:29], v[47:48], v[24:25]
	v_add_f64 v[24:25], v[47:48], -v[24:25]
	v_fma_f64 v[12:13], v[33:34], v[1:2], -v[12:13]
	v_fma_f64 v[1:2], v[35:36], v[1:2], v[3:4]
	v_add_f64 v[33:34], v[14:15], v[10:11]
	v_add_f64 v[10:11], v[14:15], -v[10:11]
	v_add_f64 v[14:15], v[16:17], v[20:21]
	v_add_f64 v[35:36], v[18:19], v[22:23]
	v_add_f64 v[16:17], v[20:21], -v[16:17]
	v_add_f64 v[18:19], v[22:23], -v[18:19]
	v_add_f64 v[3:4], v[49:50], v[12:13]
	v_add_f64 v[26:27], v[45:46], v[1:2]
	v_add_f64 v[1:2], v[45:46], -v[1:2]
	v_add_f64 v[12:13], v[49:50], -v[12:13]
	v_add_f64 v[41:42], v[16:17], v[24:25]
	v_add_f64 v[43:44], v[18:19], v[10:11]
	;; [unrolled: 1-line block ×4, first 2 shown]
	v_add_f64 v[37:38], v[28:29], -v[3:4]
	v_add_f64 v[39:40], v[33:34], -v[26:27]
	;; [unrolled: 1-line block ×8, first 2 shown]
	v_add_f64 v[14:15], v[14:15], v[20:21]
	v_add_f64 v[20:21], v[35:36], v[22:23]
	v_add_f64 v[10:11], v[10:11], -v[1:2]
	v_add_f64 v[24:25], v[24:25], -v[12:13]
	;; [unrolled: 1-line block ×4, first 2 shown]
	v_add_f64 v[12:13], v[41:42], v[12:13]
	v_add_f64 v[1:2], v[43:44], v[1:2]
	;; [unrolled: 1-line block ×4, first 2 shown]
	v_mul_f64 v[3:4], v[3:4], s[0:1]
	v_mul_f64 v[6:7], v[26:27], s[0:1]
	v_mul_f64 v[8:9], v[28:29], s[4:5]
	v_mul_f64 v[22:23], v[33:34], s[4:5]
	v_mul_f64 v[26:27], v[45:46], s[12:13]
	v_mul_f64 v[35:36], v[47:48], s[12:13]
	v_mul_f64 v[47:48], v[10:11], s[6:7]
	v_mul_f64 v[45:46], v[24:25], s[6:7]
	v_fma_f64 v[14:15], v[14:15], s[16:17], v[41:42]
	v_fma_f64 v[20:21], v[20:21], s[16:17], v[43:44]
	;; [unrolled: 1-line block ×4, first 2 shown]
	v_fma_f64 v[8:9], v[37:38], s[18:19], -v[8:9]
	v_fma_f64 v[22:23], v[39:40], s[18:19], -v[22:23]
	;; [unrolled: 1-line block ×4, first 2 shown]
	v_fma_f64 v[37:38], v[16:17], s[24:25], v[26:27]
	v_fma_f64 v[39:40], v[18:19], s[24:25], v[35:36]
	v_fma_f64 v[24:25], v[24:25], s[6:7], -v[26:27]
	v_fma_f64 v[10:11], v[10:11], s[6:7], -v[35:36]
	;; [unrolled: 1-line block ×4, first 2 shown]
	v_add_f64 v[26:27], v[28:29], v[14:15]
	v_add_f64 v[33:34], v[33:34], v[20:21]
	v_add_f64 v[28:29], v[8:9], v[14:15]
	v_add_f64 v[22:23], v[22:23], v[20:21]
	v_add_f64 v[35:36], v[6:7], v[20:21]
	v_fma_f64 v[37:38], v[12:13], s[28:29], v[37:38]
	v_fma_f64 v[39:40], v[1:2], s[28:29], v[39:40]
	;; [unrolled: 1-line block ×4, first 2 shown]
	v_add_f64 v[3:4], v[3:4], v[14:15]
	v_fma_f64 v[1:2], v[1:2], s[28:29], v[18:19]
	v_fma_f64 v[45:46], v[12:13], s[28:29], v[16:17]
	v_mul_lo_u32 v6, v32, v5
	v_add_f64 v[9:10], v[33:34], -v[37:38]
	v_add_f64 v[7:8], v[39:40], v[26:27]
	v_add_f64 v[17:18], v[24:25], v[22:23]
	v_add_f64 v[15:16], v[28:29], -v[20:21]
	v_add_f64 v[19:20], v[20:21], v[28:29]
	v_add_f64 v[21:22], v[22:23], -v[24:25]
	v_add_f64 v[25:26], v[26:27], -v[39:40]
	v_add_f64 v[27:28], v[37:38], v[33:34]
	v_lshrrev_b32_e32 v33, 1, v6
	v_add_f64 v[11:12], v[1:2], v[3:4]
	v_add_f64 v[23:24], v[3:4], -v[1:2]
	v_and_b32_e32 v1, 31, v6
	v_and_b32_e32 v33, 0x1f0, v33
	s_add_i32 s0, 0, 0x55c0
	v_lshl_add_u32 v1, v1, 4, 0
	v_add_u32_e32 v33, s0, v33
	v_add_f64 v[13:14], v[35:36], -v[45:46]
	v_add_f64 v[29:30], v[45:46], v[35:36]
	ds_read_b128 v[1:4], v1 offset:21952
	ds_read_b128 v[33:36], v33 offset:512
	s_lshl_b32 s4, s9, 4
	s_mov_b32 s1, s15
	s_waitcnt lgkmcnt(0)
	v_mul_f64 v[37:38], v[3:4], v[35:36]
	v_fma_f64 v[37:38], v[1:2], v[33:34], -v[37:38]
	v_mul_f64 v[1:2], v[1:2], v[35:36]
	v_fma_f64 v[33:34], v[3:4], v[33:34], v[1:2]
	v_lshrrev_b32_e32 v1, 6, v6
	v_and_b32_e32 v1, 0x1f0, v1
	v_add_u32_e32 v1, s0, v1
	ds_read_b128 v[1:4], v1 offset:1024
	s_waitcnt lgkmcnt(0)
	v_mul_f64 v[35:36], v[33:34], v[3:4]
	v_mul_f64 v[3:4], v[37:38], v[3:4]
	v_fma_f64 v[35:36], v[1:2], v[37:38], -v[35:36]
	v_fma_f64 v[3:4], v[1:2], v[33:34], v[3:4]
	v_mul_lo_u32 v33, v5, 49
	v_mul_f64 v[1:2], v[43:44], v[3:4]
	v_mul_f64 v[3:4], v[41:42], v[3:4]
	v_fma_f64 v[1:2], v[41:42], v[35:36], -v[1:2]
	v_add_u32_e32 v42, v6, v33
	v_and_b32_e32 v5, 31, v42
	v_lshl_add_u32 v5, v5, 4, 0
	v_fma_f64 v[3:4], v[43:44], v[35:36], v[3:4]
	ds_read_b128 v[34:37], v5 offset:21952
	v_lshrrev_b32_e32 v5, 1, v42
	v_and_b32_e32 v5, 0x1f0, v5
	v_add_u32_e32 v5, s0, v5
	ds_read_b128 v[38:41], v5 offset:512
	s_waitcnt lgkmcnt(0)
	v_mul_f64 v[5:6], v[36:37], v[40:41]
	v_fma_f64 v[5:6], v[34:35], v[38:39], -v[5:6]
	v_mul_f64 v[34:35], v[34:35], v[40:41]
	v_fma_f64 v[38:39], v[36:37], v[38:39], v[34:35]
	v_lshrrev_b32_e32 v34, 6, v42
	v_and_b32_e32 v34, 0x1f0, v34
	v_add_u32_e32 v34, s0, v34
	ds_read_b128 v[34:37], v34 offset:1024
	v_add_u32_e32 v42, v42, v33
	s_waitcnt lgkmcnt(0)
	v_mul_f64 v[40:41], v[38:39], v[36:37]
	v_fma_f64 v[40:41], v[34:35], v[5:6], -v[40:41]
	v_mul_f64 v[5:6], v[5:6], v[36:37]
	v_fma_f64 v[34:35], v[34:35], v[38:39], v[5:6]
	v_mul_f64 v[5:6], v[9:10], v[34:35]
	v_fma_f64 v[5:6], v[7:8], v[40:41], -v[5:6]
	v_mul_f64 v[7:8], v[7:8], v[34:35]
	v_fma_f64 v[7:8], v[9:10], v[40:41], v[7:8]
	v_and_b32_e32 v9, 31, v42
	v_lshl_add_u32 v9, v9, 4, 0
	ds_read_b128 v[34:37], v9 offset:21952
	v_lshrrev_b32_e32 v9, 1, v42
	v_and_b32_e32 v9, 0x1f0, v9
	v_add_u32_e32 v9, s0, v9
	ds_read_b128 v[38:41], v9 offset:512
	s_waitcnt lgkmcnt(0)
	v_mul_f64 v[9:10], v[36:37], v[40:41]
	v_fma_f64 v[9:10], v[34:35], v[38:39], -v[9:10]
	v_mul_f64 v[34:35], v[34:35], v[40:41]
	v_fma_f64 v[38:39], v[36:37], v[38:39], v[34:35]
	v_lshrrev_b32_e32 v34, 6, v42
	v_and_b32_e32 v34, 0x1f0, v34
	v_add_u32_e32 v34, s0, v34
	ds_read_b128 v[34:37], v34 offset:1024
	v_add_u32_e32 v42, v42, v33
	s_waitcnt lgkmcnt(0)
	v_mul_f64 v[40:41], v[38:39], v[36:37]
	v_fma_f64 v[40:41], v[34:35], v[9:10], -v[40:41]
	v_mul_f64 v[9:10], v[9:10], v[36:37]
	v_fma_f64 v[34:35], v[34:35], v[38:39], v[9:10]
	v_mul_f64 v[9:10], v[13:14], v[34:35]
	v_fma_f64 v[9:10], v[11:12], v[40:41], -v[9:10]
	v_mul_f64 v[11:12], v[11:12], v[34:35]
	v_fma_f64 v[11:12], v[13:14], v[40:41], v[11:12]
	v_and_b32_e32 v13, 31, v42
	v_lshl_add_u32 v13, v13, 4, 0
	;; [unrolled: 26-line block ×4, first 2 shown]
	ds_read_b128 v[34:37], v21 offset:21952
	v_lshrrev_b32_e32 v21, 1, v42
	v_and_b32_e32 v21, 0x1f0, v21
	v_add_u32_e32 v21, s0, v21
	ds_read_b128 v[38:41], v21 offset:512
	s_waitcnt lgkmcnt(0)
	v_mul_f64 v[21:22], v[36:37], v[40:41]
	v_fma_f64 v[21:22], v[34:35], v[38:39], -v[21:22]
	v_mul_f64 v[34:35], v[34:35], v[40:41]
	v_fma_f64 v[38:39], v[36:37], v[38:39], v[34:35]
	v_lshrrev_b32_e32 v34, 6, v42
	v_and_b32_e32 v34, 0x1f0, v34
	v_add_u32_e32 v34, s0, v34
	ds_read_b128 v[34:37], v34 offset:1024
	s_waitcnt lgkmcnt(0)
	v_mul_f64 v[40:41], v[38:39], v[36:37]
	v_fma_f64 v[40:41], v[34:35], v[21:22], -v[40:41]
	v_mul_f64 v[21:22], v[21:22], v[36:37]
	v_fma_f64 v[34:35], v[34:35], v[38:39], v[21:22]
	v_mul_f64 v[21:22], v[29:30], v[34:35]
	v_fma_f64 v[21:22], v[23:24], v[40:41], -v[21:22]
	v_mul_f64 v[23:24], v[23:24], v[34:35]
	v_fma_f64 v[23:24], v[29:30], v[40:41], v[23:24]
	v_add_u32_e32 v41, v42, v33
	v_and_b32_e32 v29, 31, v41
	v_lshl_add_u32 v29, v29, 4, 0
	ds_read_b128 v[33:36], v29 offset:21952
	v_lshrrev_b32_e32 v29, 1, v41
	v_and_b32_e32 v29, 0x1f0, v29
	v_add_u32_e32 v29, s0, v29
	ds_read_b128 v[37:40], v29 offset:512
	s_waitcnt lgkmcnt(0)
	v_mul_f64 v[29:30], v[35:36], v[39:40]
	v_fma_f64 v[29:30], v[33:34], v[37:38], -v[29:30]
	v_mul_f64 v[33:34], v[33:34], v[39:40]
	v_fma_f64 v[37:38], v[35:36], v[37:38], v[33:34]
	v_lshrrev_b32_e32 v33, 6, v41
	v_and_b32_e32 v33, 0x1f0, v33
	v_add_u32_e32 v33, s0, v33
	ds_read_b128 v[33:36], v33 offset:1024
	s_movk_i32 s0, 0x157
	v_mul_lo_u16_sdwa v0, v0, s0 dst_sel:DWORD dst_unused:UNUSED_PAD src0_sel:WORD_1 src1_sel:DWORD
	v_add_u32_e32 v0, v0, v32
	s_mov_b32 s0, s14
	s_waitcnt lgkmcnt(0)
	v_mul_f64 v[39:40], v[37:38], v[35:36]
	v_fma_f64 v[39:40], v[33:34], v[29:30], -v[39:40]
	v_mul_f64 v[29:30], v[29:30], v[35:36]
	v_fma_f64 v[29:30], v[33:34], v[37:38], v[29:30]
	v_mul_f64 v[33:34], v[27:28], v[29:30]
	v_fma_f64 v[33:34], v[25:26], v[39:40], -v[33:34]
	v_mul_f64 v[25:26], v[25:26], v[29:30]
	v_fma_f64 v[35:36], v[27:28], v[39:40], v[25:26]
	v_mul_lo_u32 v25, s10, v31
	v_mul_lo_u32 v26, s8, v0
	v_add_lshl_u32 v26, v25, v26, 4
	v_cndmask_b32_e32 v26, -1, v26, vcc
	buffer_store_dwordx4 v[1:4], v26, s[0:3], s4 offen
	v_add_u32_e32 v1, 49, v0
	v_mul_lo_u32 v1, s8, v1
	v_add_lshl_u32 v1, v25, v1, 4
	v_cndmask_b32_e32 v1, -1, v1, vcc
	buffer_store_dwordx4 v[5:8], v1, s[0:3], s4 offen
	v_add_u32_e32 v1, 0x62, v0
	;; [unrolled: 5-line block ×5, first 2 shown]
	v_add_u32_e32 v0, 0x126, v0
	v_mul_lo_u32 v1, s8, v1
	v_mul_lo_u32 v0, s8, v0
	v_add_lshl_u32 v1, v25, v1, 4
	v_add_lshl_u32 v0, v25, v0, 4
	v_cndmask_b32_e32 v1, -1, v1, vcc
	v_cndmask_b32_e32 v0, -1, v0, vcc
	buffer_store_dwordx4 v[21:24], v1, s[0:3], s4 offen
	buffer_store_dwordx4 v[33:36], v0, s[0:3], s4 offen
	s_endpgm
	.section	.rodata,"a",@progbits
	.p2align	6, 0x0
	.amdhsa_kernel fft_rtc_fwd_len343_factors_7_7_7_wgs_196_tpt_49_dim3_dp_op_CI_CI_sbcc_twdbase5_3step_dirReg_intrinsicReadWrite
		.amdhsa_group_segment_fixed_size 0
		.amdhsa_private_segment_fixed_size 0
		.amdhsa_kernarg_size 104
		.amdhsa_user_sgpr_count 6
		.amdhsa_user_sgpr_private_segment_buffer 1
		.amdhsa_user_sgpr_dispatch_ptr 0
		.amdhsa_user_sgpr_queue_ptr 0
		.amdhsa_user_sgpr_kernarg_segment_ptr 1
		.amdhsa_user_sgpr_dispatch_id 0
		.amdhsa_user_sgpr_flat_scratch_init 0
		.amdhsa_user_sgpr_private_segment_size 0
		.amdhsa_uses_dynamic_stack 0
		.amdhsa_system_sgpr_private_segment_wavefront_offset 0
		.amdhsa_system_sgpr_workgroup_id_x 1
		.amdhsa_system_sgpr_workgroup_id_y 0
		.amdhsa_system_sgpr_workgroup_id_z 0
		.amdhsa_system_sgpr_workgroup_info 0
		.amdhsa_system_vgpr_workitem_id 0
		.amdhsa_next_free_vgpr 54
		.amdhsa_next_free_sgpr 38
		.amdhsa_reserve_vcc 1
		.amdhsa_reserve_flat_scratch 0
		.amdhsa_float_round_mode_32 0
		.amdhsa_float_round_mode_16_64 0
		.amdhsa_float_denorm_mode_32 3
		.amdhsa_float_denorm_mode_16_64 3
		.amdhsa_dx10_clamp 1
		.amdhsa_ieee_mode 1
		.amdhsa_fp16_overflow 0
		.amdhsa_exception_fp_ieee_invalid_op 0
		.amdhsa_exception_fp_denorm_src 0
		.amdhsa_exception_fp_ieee_div_zero 0
		.amdhsa_exception_fp_ieee_overflow 0
		.amdhsa_exception_fp_ieee_underflow 0
		.amdhsa_exception_fp_ieee_inexact 0
		.amdhsa_exception_int_div_zero 0
	.end_amdhsa_kernel
	.text
.Lfunc_end0:
	.size	fft_rtc_fwd_len343_factors_7_7_7_wgs_196_tpt_49_dim3_dp_op_CI_CI_sbcc_twdbase5_3step_dirReg_intrinsicReadWrite, .Lfunc_end0-fft_rtc_fwd_len343_factors_7_7_7_wgs_196_tpt_49_dim3_dp_op_CI_CI_sbcc_twdbase5_3step_dirReg_intrinsicReadWrite
                                        ; -- End function
	.section	.AMDGPU.csdata,"",@progbits
; Kernel info:
; codeLenInByte = 5452
; NumSgprs: 42
; NumVgprs: 54
; ScratchSize: 0
; MemoryBound: 0
; FloatMode: 240
; IeeeMode: 1
; LDSByteSize: 0 bytes/workgroup (compile time only)
; SGPRBlocks: 5
; VGPRBlocks: 13
; NumSGPRsForWavesPerEU: 42
; NumVGPRsForWavesPerEU: 54
; Occupancy: 4
; WaveLimiterHint : 0
; COMPUTE_PGM_RSRC2:SCRATCH_EN: 0
; COMPUTE_PGM_RSRC2:USER_SGPR: 6
; COMPUTE_PGM_RSRC2:TRAP_HANDLER: 0
; COMPUTE_PGM_RSRC2:TGID_X_EN: 1
; COMPUTE_PGM_RSRC2:TGID_Y_EN: 0
; COMPUTE_PGM_RSRC2:TGID_Z_EN: 0
; COMPUTE_PGM_RSRC2:TIDIG_COMP_CNT: 0
	.type	__hip_cuid_556baadc5a126ad7,@object ; @__hip_cuid_556baadc5a126ad7
	.section	.bss,"aw",@nobits
	.globl	__hip_cuid_556baadc5a126ad7
__hip_cuid_556baadc5a126ad7:
	.byte	0                               ; 0x0
	.size	__hip_cuid_556baadc5a126ad7, 1

	.ident	"AMD clang version 19.0.0git (https://github.com/RadeonOpenCompute/llvm-project roc-6.4.0 25133 c7fe45cf4b819c5991fe208aaa96edf142730f1d)"
	.section	".note.GNU-stack","",@progbits
	.addrsig
	.addrsig_sym __hip_cuid_556baadc5a126ad7
	.amdgpu_metadata
---
amdhsa.kernels:
  - .args:
      - .actual_access:  read_only
        .address_space:  global
        .offset:         0
        .size:           8
        .value_kind:     global_buffer
      - .address_space:  global
        .offset:         8
        .size:           8
        .value_kind:     global_buffer
      - .actual_access:  read_only
        .address_space:  global
        .offset:         16
        .size:           8
        .value_kind:     global_buffer
      - .actual_access:  read_only
        .address_space:  global
        .offset:         24
        .size:           8
        .value_kind:     global_buffer
      - .actual_access:  read_only
        .address_space:  global
        .offset:         32
        .size:           8
        .value_kind:     global_buffer
      - .offset:         40
        .size:           8
        .value_kind:     by_value
      - .actual_access:  read_only
        .address_space:  global
        .offset:         48
        .size:           8
        .value_kind:     global_buffer
      - .actual_access:  read_only
        .address_space:  global
        .offset:         56
        .size:           8
        .value_kind:     global_buffer
      - .offset:         64
        .size:           4
        .value_kind:     by_value
      - .actual_access:  read_only
        .address_space:  global
        .offset:         72
        .size:           8
        .value_kind:     global_buffer
      - .actual_access:  read_only
        .address_space:  global
        .offset:         80
        .size:           8
        .value_kind:     global_buffer
      - .address_space:  global
        .offset:         88
        .size:           8
        .value_kind:     global_buffer
      - .address_space:  global
        .offset:         96
        .size:           8
        .value_kind:     global_buffer
    .group_segment_fixed_size: 0
    .kernarg_segment_align: 8
    .kernarg_segment_size: 104
    .language:       OpenCL C
    .language_version:
      - 2
      - 0
    .max_flat_workgroup_size: 196
    .name:           fft_rtc_fwd_len343_factors_7_7_7_wgs_196_tpt_49_dim3_dp_op_CI_CI_sbcc_twdbase5_3step_dirReg_intrinsicReadWrite
    .private_segment_fixed_size: 0
    .sgpr_count:     42
    .sgpr_spill_count: 0
    .symbol:         fft_rtc_fwd_len343_factors_7_7_7_wgs_196_tpt_49_dim3_dp_op_CI_CI_sbcc_twdbase5_3step_dirReg_intrinsicReadWrite.kd
    .uniform_work_group_size: 1
    .uses_dynamic_stack: false
    .vgpr_count:     54
    .vgpr_spill_count: 0
    .wavefront_size: 64
amdhsa.target:   amdgcn-amd-amdhsa--gfx906
amdhsa.version:
  - 1
  - 2
...

	.end_amdgpu_metadata
